;; amdgpu-corpus repo=ROCm/rocFFT kind=compiled arch=gfx906 opt=O3
	.text
	.amdgcn_target "amdgcn-amd-amdhsa--gfx906"
	.amdhsa_code_object_version 6
	.protected	bluestein_single_back_len1024_dim1_dp_op_CI_CI ; -- Begin function bluestein_single_back_len1024_dim1_dp_op_CI_CI
	.globl	bluestein_single_back_len1024_dim1_dp_op_CI_CI
	.p2align	8
	.type	bluestein_single_back_len1024_dim1_dp_op_CI_CI,@function
bluestein_single_back_len1024_dim1_dp_op_CI_CI: ; @bluestein_single_back_len1024_dim1_dp_op_CI_CI
; %bb.0:
	s_load_dwordx4 s[12:15], s[4:5], 0x28
	s_mov_b32 s7, 0
	s_waitcnt lgkmcnt(0)
	v_mov_b32_e32 v1, s12
	v_mov_b32_e32 v2, s13
	v_cmp_lt_u64_e32 vcc, s[6:7], v[1:2]
	s_and_saveexec_b64 s[0:1], vcc
	s_cbranch_execz .LBB0_2
; %bb.1:
	s_load_dwordx4 s[0:3], s[4:5], 0x18
	s_load_dwordx4 s[8:11], s[4:5], 0x0
	v_mov_b32_e32 v130, s7
	v_mov_b32_e32 v129, s6
	;; [unrolled: 1-line block ×3, first 2 shown]
	s_waitcnt lgkmcnt(0)
	s_load_dwordx4 s[16:19], s[0:1], 0x0
	s_add_u32 s12, s8, 0x4000
	s_addc_u32 s13, s9, 0
	v_lshlrev_b32_e32 v134, 4, v0
	v_or_b32_e32 v114, 0x1000, v134
	s_waitcnt lgkmcnt(0)
	v_mad_u64_u32 v[1:2], s[0:1], s18, v129, 0
	v_mad_u64_u32 v[3:4], s[0:1], s16, v0, 0
	v_or_b32_e32 v116, 0x1800, v134
	v_or_b32_e32 v113, 0x2000, v134
	v_mad_u64_u32 v[5:6], s[0:1], s19, v129, v[2:3]
	v_or_b32_e32 v115, 0x2800, v134
	v_or_b32_e32 v121, 0x3000, v134
	v_mad_u64_u32 v[6:7], s[0:1], s17, v0, v[4:5]
	v_mov_b32_e32 v2, v5
	v_lshlrev_b64 v[1:2], 4, v[1:2]
	v_mov_b32_e32 v4, v6
	v_add_co_u32_e32 v5, vcc, s14, v1
	v_addc_co_u32_e32 v6, vcc, v8, v2, vcc
	v_lshlrev_b64 v[1:2], 4, v[3:4]
	s_lshl_b64 s[0:1], s[16:17], 11
	v_add_co_u32_e32 v1, vcc, v5, v1
	v_addc_co_u32_e32 v2, vcc, v6, v2, vcc
	global_load_dwordx4 v[33:36], v[1:2], off
	v_mov_b32_e32 v27, s1
	v_add_co_u32_e32 v1, vcc, s0, v1
	v_addc_co_u32_e32 v2, vcc, v2, v27, vcc
	v_add_co_u32_e32 v3, vcc, s0, v1
	v_addc_co_u32_e32 v4, vcc, v2, v27, vcc
	global_load_dwordx4 v[29:32], v134, s[8:9]
	global_load_dwordx4 v[17:20], v134, s[8:9] offset:2048
	global_load_dwordx4 v[37:40], v[1:2], off
	global_load_dwordx4 v[41:44], v[3:4], off
	v_add_co_u32_e32 v1, vcc, s0, v3
	v_addc_co_u32_e32 v2, vcc, v4, v27, vcc
	global_load_dwordx4 v[45:48], v[1:2], off
	v_add_co_u32_e32 v1, vcc, s0, v1
	v_addc_co_u32_e32 v2, vcc, v2, v27, vcc
	global_load_dwordx4 v[13:16], v114, s[8:9]
	global_load_dwordx4 v[9:12], v113, s[8:9]
	v_add_co_u32_e32 v5, vcc, s0, v1
	global_load_dwordx4 v[21:24], v116, s[8:9]
	v_addc_co_u32_e32 v6, vcc, v2, v27, vcc
	global_load_dwordx4 v[49:52], v[1:2], off
	v_add_co_u32_e32 v25, vcc, s0, v5
	global_load_dwordx4 v[1:4], v115, s[8:9]
	global_load_dwordx4 v[53:56], v[5:6], off
	v_addc_co_u32_e32 v26, vcc, v6, v27, vcc
	global_load_dwordx4 v[57:60], v[25:26], off
	global_load_dwordx4 v[5:8], v121, s[8:9]
	v_add_co_u32_e32 v65, vcc, s0, v25
	v_or_b32_e32 v122, 0x3800, v134
	v_addc_co_u32_e32 v66, vcc, v26, v27, vcc
	global_load_dwordx4 v[25:28], v122, s[8:9]
	global_load_dwordx4 v[61:64], v[65:66], off
	s_load_dwordx4 s[0:3], s[2:3], 0x0
	s_mov_b32 s6, 0x667f3bcd
	s_mov_b32 s7, 0xbfe6a09e
	;; [unrolled: 1-line block ×4, first 2 shown]
	v_lshlrev_b32_e32 v135, 7, v0
	s_movk_i32 s14, 0x70
	s_movk_i32 s17, 0x2000
	;; [unrolled: 1-line block ×3, first 2 shown]
	s_load_dwordx2 s[4:5], s[4:5], 0x38
	s_waitcnt vmcnt(14)
	v_mul_f64 v[65:66], v[35:36], v[31:32]
	v_mul_f64 v[67:68], v[33:34], v[31:32]
	s_waitcnt vmcnt(12)
	v_mul_f64 v[69:70], v[39:40], v[19:20]
	v_mul_f64 v[71:72], v[37:38], v[19:20]
	v_fma_f64 v[33:34], v[33:34], v[29:30], v[65:66]
	v_fma_f64 v[35:36], v[35:36], v[29:30], -v[67:68]
	v_fma_f64 v[37:38], v[37:38], v[17:18], v[69:70]
	v_fma_f64 v[39:40], v[39:40], v[17:18], -v[71:72]
	s_waitcnt vmcnt(9)
	v_mul_f64 v[73:74], v[43:44], v[15:16]
	v_mul_f64 v[75:76], v[41:42], v[15:16]
	s_waitcnt vmcnt(7)
	v_mul_f64 v[77:78], v[47:48], v[23:24]
	v_mul_f64 v[79:80], v[45:46], v[23:24]
	;; [unrolled: 3-line block ×3, first 2 shown]
	v_fma_f64 v[41:42], v[41:42], v[13:14], v[73:74]
	v_fma_f64 v[43:44], v[43:44], v[13:14], -v[75:76]
	s_waitcnt vmcnt(4)
	v_mul_f64 v[85:86], v[55:56], v[3:4]
	v_mul_f64 v[87:88], v[53:54], v[3:4]
	v_fma_f64 v[45:46], v[45:46], v[21:22], v[77:78]
	v_fma_f64 v[47:48], v[47:48], v[21:22], -v[79:80]
	s_waitcnt vmcnt(2)
	v_mul_f64 v[89:90], v[59:60], v[7:8]
	v_mul_f64 v[91:92], v[57:58], v[7:8]
	v_fma_f64 v[49:50], v[49:50], v[9:10], v[81:82]
	v_fma_f64 v[51:52], v[51:52], v[9:10], -v[83:84]
	v_fma_f64 v[53:54], v[53:54], v[1:2], v[85:86]
	v_fma_f64 v[55:56], v[55:56], v[1:2], -v[87:88]
	s_waitcnt vmcnt(0)
	v_mul_f64 v[93:94], v[63:64], v[27:28]
	v_mul_f64 v[95:96], v[61:62], v[27:28]
	v_fma_f64 v[57:58], v[57:58], v[5:6], v[89:90]
	v_fma_f64 v[59:60], v[59:60], v[5:6], -v[91:92]
	v_and_b32_e32 v73, 63, v0
	v_fma_f64 v[61:62], v[61:62], v[25:26], v[93:94]
	v_fma_f64 v[63:64], v[63:64], v[25:26], -v[95:96]
	ds_write_b128 v134, v[33:36]
	ds_write_b128 v134, v[37:40] offset:2048
	ds_write_b128 v134, v[41:44] offset:4096
	;; [unrolled: 1-line block ×7, first 2 shown]
	s_waitcnt lgkmcnt(0)
	s_barrier
	ds_read_b128 v[33:36], v134
	ds_read_b128 v[37:40], v134 offset:2048
	ds_read_b128 v[41:44], v134 offset:8192
	;; [unrolled: 1-line block ×7, first 2 shown]
	s_waitcnt lgkmcnt(5)
	v_add_f64 v[41:42], v[33:34], -v[41:42]
	v_add_f64 v[43:44], v[35:36], -v[43:44]
	s_waitcnt lgkmcnt(2)
	v_add_f64 v[53:54], v[45:46], -v[53:54]
	v_add_f64 v[55:56], v[47:48], -v[55:56]
	;; [unrolled: 3-line block ×4, first 2 shown]
	v_fma_f64 v[33:34], v[33:34], 2.0, -v[41:42]
	v_fma_f64 v[35:36], v[35:36], 2.0, -v[43:44]
	;; [unrolled: 1-line block ×8, first 2 shown]
	v_add_f64 v[65:66], v[41:42], -v[55:56]
	v_add_f64 v[67:68], v[43:44], v[53:54]
	v_add_f64 v[53:54], v[57:58], -v[63:64]
	v_add_f64 v[55:56], v[59:60], v[61:62]
	v_add_f64 v[61:62], v[33:34], -v[45:46]
	v_add_f64 v[63:64], v[35:36], -v[47:48]
	;; [unrolled: 1-line block ×4, first 2 shown]
	v_fma_f64 v[69:70], v[41:42], 2.0, -v[65:66]
	v_fma_f64 v[71:72], v[43:44], 2.0, -v[67:68]
	;; [unrolled: 1-line block ×8, first 2 shown]
	v_fma_f64 v[57:58], v[53:54], s[8:9], v[65:66]
	v_fma_f64 v[59:60], v[55:56], s[8:9], v[67:68]
	;; [unrolled: 1-line block ×4, first 2 shown]
	s_barrier
	v_add_f64 v[33:34], v[49:50], -v[33:34]
	v_add_f64 v[35:36], v[51:52], -v[35:36]
	v_fma_f64 v[37:38], v[43:44], s[6:7], v[37:38]
	v_fma_f64 v[39:40], v[41:42], s[8:9], v[39:40]
	v_add_f64 v[41:42], v[61:62], -v[47:48]
	v_add_f64 v[43:44], v[63:64], v[45:46]
	v_fma_f64 v[45:46], v[55:56], s[6:7], v[57:58]
	v_fma_f64 v[47:48], v[53:54], s[8:9], v[59:60]
	v_fma_f64 v[49:50], v[49:50], 2.0, -v[33:34]
	v_fma_f64 v[51:52], v[51:52], 2.0, -v[35:36]
	v_fma_f64 v[53:54], v[69:70], 2.0, -v[37:38]
	v_fma_f64 v[55:56], v[71:72], 2.0, -v[39:40]
	v_fma_f64 v[57:58], v[61:62], 2.0, -v[41:42]
	v_fma_f64 v[59:60], v[63:64], 2.0, -v[43:44]
	v_fma_f64 v[61:62], v[65:66], 2.0, -v[45:46]
	v_fma_f64 v[63:64], v[67:68], 2.0, -v[47:48]
	ds_write_b128 v135, v[49:52]
	ds_write_b128 v135, v[53:56] offset:16
	ds_write_b128 v135, v[57:60] offset:32
	ds_write_b128 v135, v[61:64] offset:48
	ds_write_b128 v135, v[33:36] offset:64
	ds_write_b128 v135, v[37:40] offset:80
	ds_write_b128 v135, v[41:44] offset:96
	ds_write_b128 v135, v[45:48] offset:112
	v_mov_b32_e32 v34, s11
	v_and_b32_e32 v63, 7, v0
	v_mov_b32_e32 v33, s10
	v_mad_u64_u32 v[61:62], s[14:15], v63, s14, v[33:34]
	s_waitcnt lgkmcnt(0)
	s_barrier
	global_load_dwordx4 v[45:48], v[61:62], off
	global_load_dwordx4 v[41:44], v[61:62], off offset:16
	global_load_dwordx4 v[37:40], v[61:62], off offset:32
	;; [unrolled: 1-line block ×6, first 2 shown]
	v_lshlrev_b32_e32 v61, 3, v0
	s_movk_i32 s14, 0x3c0
	v_and_or_b32 v61, v61, s14, v63
	v_lshlrev_b32_e32 v136, 4, v61
	ds_read_b128 v[61:64], v134
	ds_read_b128 v[65:68], v134 offset:2048
	ds_read_b128 v[69:72], v134 offset:4096
	;; [unrolled: 1-line block ×7, first 2 shown]
	v_mad_u64_u32 v[94:95], s[14:15], v73, 48, s[10:11]
	s_waitcnt vmcnt(0) lgkmcnt(0)
	s_barrier
	s_movk_i32 s15, 0x100
	s_movk_i32 s14, 0x300
	v_mul_f64 v[96:97], v[67:68], v[47:48]
	v_mul_f64 v[98:99], v[65:66], v[47:48]
	;; [unrolled: 1-line block ×14, first 2 shown]
	v_fma_f64 v[65:66], v[65:66], v[45:46], -v[96:97]
	v_fma_f64 v[67:68], v[67:68], v[45:46], v[98:99]
	v_fma_f64 v[69:70], v[69:70], v[41:42], -v[100:101]
	v_fma_f64 v[71:72], v[71:72], v[41:42], v[102:103]
	;; [unrolled: 2-line block ×7, first 2 shown]
	v_add_f64 v[78:79], v[61:62], -v[78:79]
	v_add_f64 v[80:81], v[63:64], -v[80:81]
	;; [unrolled: 1-line block ×8, first 2 shown]
	v_fma_f64 v[61:62], v[61:62], 2.0, -v[78:79]
	v_fma_f64 v[63:64], v[63:64], 2.0, -v[80:81]
	;; [unrolled: 1-line block ×8, first 2 shown]
	v_add_f64 v[88:89], v[78:79], -v[88:89]
	v_add_f64 v[86:87], v[80:81], v[86:87]
	v_add_f64 v[92:93], v[82:83], -v[92:93]
	v_add_f64 v[90:91], v[84:85], v[90:91]
	v_add_f64 v[96:97], v[61:62], -v[69:70]
	v_add_f64 v[98:99], v[63:64], -v[71:72]
	;; [unrolled: 1-line block ×4, first 2 shown]
	v_fma_f64 v[100:101], v[78:79], 2.0, -v[88:89]
	v_fma_f64 v[102:103], v[80:81], 2.0, -v[86:87]
	;; [unrolled: 1-line block ×4, first 2 shown]
	v_fma_f64 v[78:79], v[92:93], s[8:9], v[88:89]
	v_fma_f64 v[80:81], v[90:91], s[8:9], v[86:87]
	v_fma_f64 v[104:105], v[61:62], 2.0, -v[96:97]
	v_fma_f64 v[106:107], v[63:64], 2.0, -v[98:99]
	;; [unrolled: 1-line block ×4, first 2 shown]
	v_fma_f64 v[108:109], v[76:77], s[6:7], v[100:101]
	v_fma_f64 v[110:111], v[74:75], s[6:7], v[102:103]
	v_add_f64 v[61:62], v[96:97], -v[71:72]
	v_add_f64 v[63:64], v[98:99], v[69:70]
	v_fma_f64 v[65:66], v[90:91], s[6:7], v[78:79]
	v_fma_f64 v[67:68], v[92:93], s[8:9], v[80:81]
	v_add_f64 v[69:70], v[104:105], -v[82:83]
	v_add_f64 v[71:72], v[106:107], -v[84:85]
	v_fma_f64 v[74:75], v[74:75], s[6:7], v[108:109]
	v_fma_f64 v[76:77], v[76:77], s[8:9], v[110:111]
	v_fma_f64 v[78:79], v[96:97], 2.0, -v[61:62]
	v_fma_f64 v[80:81], v[98:99], 2.0, -v[63:64]
	;; [unrolled: 1-line block ×8, first 2 shown]
	ds_write_b128 v136, v[61:64] offset:768
	ds_write_b128 v136, v[65:68] offset:896
	;; [unrolled: 1-line block ×6, first 2 shown]
	ds_write_b128 v136, v[86:89]
	ds_write_b128 v136, v[90:93] offset:128
	s_waitcnt lgkmcnt(0)
	s_barrier
	global_load_dwordx4 v[69:72], v[94:95], off offset:896
	global_load_dwordx4 v[65:68], v[94:95], off offset:912
	global_load_dwordx4 v[61:64], v[94:95], off offset:928
	v_lshlrev_b32_e32 v74, 2, v0
	v_and_or_b32 v75, v74, s15, v73
	v_or_b32_e32 v74, 0x200, v74
	v_and_or_b32 v73, v74, s14, v73
	v_lshlrev_b32_e32 v137, 4, v75
	v_lshlrev_b32_e32 v138, 4, v73
	ds_read_b128 v[73:76], v134 offset:4096
	ds_read_b128 v[77:80], v134 offset:6144
	;; [unrolled: 1-line block ×6, first 2 shown]
	ds_read_b128 v[97:100], v134
	ds_read_b128 v[101:104], v134 offset:2048
	v_mad_u64_u32 v[105:106], s[10:11], v0, 48, s[10:11]
	s_waitcnt vmcnt(0) lgkmcnt(0)
	s_barrier
	v_add_co_u32_e32 v107, vcc, s17, v105
	v_addc_co_u32_e32 v108, vcc, 0, v106, vcc
	v_mul_f64 v[109:110], v[75:76], v[71:72]
	v_mul_f64 v[111:112], v[73:74], v[71:72]
	v_mul_f64 v[117:118], v[83:84], v[67:68]
	v_mul_f64 v[119:120], v[81:82], v[67:68]
	v_mul_f64 v[123:124], v[91:92], v[63:64]
	v_mul_f64 v[125:126], v[89:90], v[63:64]
	v_mul_f64 v[127:128], v[79:80], v[71:72]
	v_mul_f64 v[130:131], v[77:78], v[71:72]
	v_mul_f64 v[132:133], v[87:88], v[67:68]
	v_mul_f64 v[139:140], v[85:86], v[67:68]
	v_mul_f64 v[141:142], v[95:96], v[63:64]
	v_mul_f64 v[143:144], v[93:94], v[63:64]
	v_fma_f64 v[73:74], v[73:74], v[69:70], -v[109:110]
	v_fma_f64 v[75:76], v[75:76], v[69:70], v[111:112]
	v_fma_f64 v[81:82], v[81:82], v[65:66], -v[117:118]
	v_fma_f64 v[83:84], v[83:84], v[65:66], v[119:120]
	;; [unrolled: 2-line block ×6, first 2 shown]
	v_add_f64 v[109:110], v[97:98], -v[81:82]
	v_add_f64 v[111:112], v[99:100], -v[83:84]
	;; [unrolled: 1-line block ×8, first 2 shown]
	v_fma_f64 v[97:98], v[97:98], 2.0, -v[109:110]
	v_fma_f64 v[99:100], v[99:100], 2.0, -v[111:112]
	v_fma_f64 v[89:90], v[73:74], 2.0, -v[81:82]
	v_fma_f64 v[91:92], v[75:76], 2.0, -v[83:84]
	v_fma_f64 v[101:102], v[101:102], 2.0, -v[117:118]
	v_fma_f64 v[103:104], v[103:104], 2.0, -v[119:120]
	v_fma_f64 v[93:94], v[77:78], 2.0, -v[85:86]
	v_fma_f64 v[95:96], v[79:80], 2.0, -v[87:88]
	v_add_f64 v[73:74], v[109:110], -v[83:84]
	v_add_f64 v[75:76], v[111:112], v[81:82]
	v_add_f64 v[77:78], v[117:118], -v[87:88]
	v_add_f64 v[79:80], v[119:120], v[85:86]
	v_add_f64 v[81:82], v[97:98], -v[89:90]
	v_add_f64 v[83:84], v[99:100], -v[91:92]
	v_add_f64 v[85:86], v[101:102], -v[93:94]
	v_add_f64 v[87:88], v[103:104], -v[95:96]
	v_fma_f64 v[89:90], v[109:110], 2.0, -v[73:74]
	v_fma_f64 v[91:92], v[111:112], 2.0, -v[75:76]
	;; [unrolled: 1-line block ×8, first 2 shown]
	ds_write_b128 v137, v[73:76] offset:3072
	ds_write_b128 v138, v[77:80] offset:3072
	;; [unrolled: 1-line block ×6, first 2 shown]
	ds_write_b128 v137, v[97:100]
	ds_write_b128 v138, v[101:104]
	v_add_co_u32_e32 v97, vcc, s16, v105
	v_addc_co_u32_e32 v98, vcc, 0, v106, vcc
	s_waitcnt lgkmcnt(0)
	s_barrier
	global_load_dwordx4 v[93:96], v[105:106], off offset:3968
	global_load_dwordx4 v[85:88], v[105:106], off offset:3984
	;; [unrolled: 1-line block ×6, first 2 shown]
	ds_read_b128 v[97:100], v134 offset:4096
	ds_read_b128 v[101:104], v134 offset:6144
	ds_read_b128 v[105:108], v134 offset:8192
	ds_read_b128 v[109:112], v134 offset:10240
	ds_read_b128 v[117:120], v134 offset:12288
	ds_read_b128 v[123:126], v134 offset:14336
	ds_read_b128 v[130:133], v134
	ds_read_b128 v[139:142], v134 offset:2048
	s_waitcnt vmcnt(5) lgkmcnt(7)
	v_mul_f64 v[127:128], v[99:100], v[95:96]
	v_mul_f64 v[143:144], v[97:98], v[95:96]
	s_waitcnt vmcnt(4) lgkmcnt(5)
	v_mul_f64 v[145:146], v[107:108], v[87:88]
	v_mul_f64 v[147:148], v[105:106], v[87:88]
	;; [unrolled: 3-line block ×3, first 2 shown]
	s_waitcnt vmcnt(2)
	v_mul_f64 v[153:154], v[103:104], v[75:76]
	v_mul_f64 v[155:156], v[101:102], v[75:76]
	s_waitcnt vmcnt(1)
	v_mul_f64 v[157:158], v[111:112], v[91:92]
	v_mul_f64 v[159:160], v[109:110], v[91:92]
	s_waitcnt vmcnt(0) lgkmcnt(2)
	v_mul_f64 v[161:162], v[125:126], v[83:84]
	v_mul_f64 v[163:164], v[123:124], v[83:84]
	v_fma_f64 v[97:98], v[97:98], v[93:94], -v[127:128]
	v_fma_f64 v[99:100], v[99:100], v[93:94], v[143:144]
	v_fma_f64 v[105:106], v[105:106], v[85:86], -v[145:146]
	v_fma_f64 v[107:108], v[107:108], v[85:86], v[147:148]
	;; [unrolled: 2-line block ×6, first 2 shown]
	s_waitcnt lgkmcnt(1)
	v_add_f64 v[127:128], v[130:131], -v[105:106]
	v_add_f64 v[143:144], v[132:133], -v[107:108]
	;; [unrolled: 1-line block ×4, first 2 shown]
	s_waitcnt lgkmcnt(0)
	v_add_f64 v[145:146], v[139:140], -v[109:110]
	v_add_f64 v[147:148], v[141:142], -v[111:112]
	;; [unrolled: 1-line block ×4, first 2 shown]
	v_fma_f64 v[130:131], v[130:131], 2.0, -v[127:128]
	v_fma_f64 v[132:133], v[132:133], 2.0, -v[143:144]
	;; [unrolled: 1-line block ×8, first 2 shown]
	v_add_f64 v[97:98], v[127:128], -v[107:108]
	v_add_f64 v[99:100], v[143:144], v[105:106]
	v_add_f64 v[101:102], v[145:146], -v[111:112]
	v_add_f64 v[103:104], v[147:148], v[109:110]
	v_add_f64 v[105:106], v[130:131], -v[117:118]
	v_add_f64 v[107:108], v[132:133], -v[119:120]
	;; [unrolled: 1-line block ×4, first 2 shown]
	v_fma_f64 v[117:118], v[127:128], 2.0, -v[97:98]
	v_fma_f64 v[119:120], v[143:144], 2.0, -v[99:100]
	;; [unrolled: 1-line block ×8, first 2 shown]
	ds_write_b128 v134, v[97:100] offset:12288
	ds_write_b128 v134, v[101:104] offset:14336
	;; [unrolled: 1-line block ×6, first 2 shown]
	ds_write_b128 v134, v[130:133]
	ds_write_b128 v134, v[139:142] offset:2048
	s_waitcnt lgkmcnt(0)
	s_barrier
	global_load_dwordx4 v[101:104], v134, s[12:13]
	global_load_dwordx4 v[97:100], v134, s[12:13] offset:2048
	global_load_dwordx4 v[109:112], v114, s[12:13]
	global_load_dwordx4 v[105:108], v116, s[12:13]
                                        ; kill: killed $vgpr114
                                        ; kill: killed $vgpr116
	global_load_dwordx4 v[117:120], v113, s[12:13]
	s_nop 0
	global_load_dwordx4 v[113:116], v115, s[12:13]
	s_nop 0
	;; [unrolled: 2-line block ×3, first 2 shown]
	global_load_dwordx4 v[121:124], v122, s[12:13]
	ds_read_b128 v[139:142], v134
	ds_read_b128 v[143:146], v134 offset:2048
	ds_read_b128 v[147:150], v134 offset:4096
	;; [unrolled: 1-line block ×7, first 2 shown]
	v_mad_u64_u32 v[132:133], s[10:11], s2, v129, 0
	v_mad_u64_u32 v[130:131], s[10:11], s0, v0, 0
	s_waitcnt vmcnt(7) lgkmcnt(7)
	v_mul_f64 v[171:172], v[141:142], v[103:104]
	v_mul_f64 v[103:104], v[139:140], v[103:104]
	s_waitcnt vmcnt(6) lgkmcnt(6)
	v_mul_f64 v[173:174], v[145:146], v[99:100]
	v_mul_f64 v[175:176], v[143:144], v[99:100]
	;; [unrolled: 3-line block ×8, first 2 shown]
	v_fma_f64 v[99:100], v[139:140], v[101:102], -v[171:172]
	v_fma_f64 v[101:102], v[141:142], v[101:102], v[103:104]
	v_fma_f64 v[139:140], v[143:144], v[97:98], -v[173:174]
	v_fma_f64 v[141:142], v[145:146], v[97:98], v[175:176]
	;; [unrolled: 2-line block ×8, first 2 shown]
	ds_write_b128 v134, v[99:102]
	ds_write_b128 v134, v[139:142] offset:2048
	ds_write_b128 v134, v[107:110] offset:4096
	;; [unrolled: 1-line block ×7, first 2 shown]
	s_waitcnt lgkmcnt(0)
	s_barrier
	ds_read_b128 v[97:100], v134
	ds_read_b128 v[101:104], v134 offset:2048
	ds_read_b128 v[105:108], v134 offset:8192
	;; [unrolled: 1-line block ×7, first 2 shown]
	s_waitcnt lgkmcnt(5)
	v_add_f64 v[105:106], v[97:98], -v[105:106]
	v_add_f64 v[107:108], v[99:100], -v[107:108]
	s_waitcnt lgkmcnt(4)
	v_add_f64 v[109:110], v[101:102], -v[109:110]
	s_waitcnt lgkmcnt(1)
	v_add_f64 v[121:122], v[113:114], -v[121:122]
	v_add_f64 v[123:124], v[115:116], -v[123:124]
	;; [unrolled: 1-line block ×3, first 2 shown]
	s_waitcnt lgkmcnt(0)
	v_add_f64 v[127:128], v[119:120], -v[127:128]
	v_add_f64 v[125:126], v[117:118], -v[125:126]
	v_fma_f64 v[97:98], v[97:98], 2.0, -v[105:106]
	v_fma_f64 v[99:100], v[99:100], 2.0, -v[107:108]
	;; [unrolled: 1-line block ×6, first 2 shown]
	v_add_f64 v[139:140], v[109:110], v[127:128]
	v_add_f64 v[141:142], v[111:112], -v[125:126]
	v_fma_f64 v[117:118], v[117:118], 2.0, -v[125:126]
	v_fma_f64 v[119:120], v[119:120], 2.0, -v[127:128]
	v_add_f64 v[123:124], v[105:106], v[123:124]
	v_add_f64 v[121:122], v[107:108], -v[121:122]
	v_add_f64 v[113:114], v[97:98], -v[113:114]
	;; [unrolled: 1-line block ×3, first 2 shown]
	v_fma_f64 v[125:126], v[109:110], 2.0, -v[139:140]
	v_fma_f64 v[109:110], v[111:112], 2.0, -v[141:142]
	v_add_f64 v[111:112], v[101:102], -v[117:118]
	v_add_f64 v[117:118], v[103:104], -v[119:120]
	v_fma_f64 v[127:128], v[105:106], 2.0, -v[123:124]
	v_fma_f64 v[143:144], v[107:108], 2.0, -v[121:122]
	v_fma_f64 v[105:106], v[141:142], s[8:9], v[121:122]
	v_fma_f64 v[107:108], v[139:140], s[8:9], v[123:124]
	v_fma_f64 v[145:146], v[97:98], 2.0, -v[113:114]
	v_fma_f64 v[147:148], v[99:100], 2.0, -v[115:116]
	;; [unrolled: 1-line block ×4, first 2 shown]
	v_fma_f64 v[151:152], v[125:126], s[6:7], v[127:128]
	v_fma_f64 v[153:154], v[109:110], s[6:7], v[143:144]
	v_add_f64 v[97:98], v[113:114], v[117:118]
	v_add_f64 v[99:100], v[115:116], -v[111:112]
	v_fma_f64 v[101:102], v[141:142], s[8:9], v[107:108]
	v_fma_f64 v[103:104], v[139:140], s[6:7], v[105:106]
	v_add_f64 v[105:106], v[145:146], -v[119:120]
	v_add_f64 v[107:108], v[147:148], -v[149:150]
	v_fma_f64 v[109:110], v[109:110], s[8:9], v[151:152]
	v_fma_f64 v[111:112], v[125:126], s[6:7], v[153:154]
	v_fma_f64 v[113:114], v[113:114], 2.0, -v[97:98]
	v_fma_f64 v[115:116], v[115:116], 2.0, -v[99:100]
	;; [unrolled: 1-line block ×8, first 2 shown]
	s_barrier
	ds_write_b128 v135, v[97:100] offset:96
	ds_write_b128 v135, v[101:104] offset:112
	;; [unrolled: 1-line block ×6, first 2 shown]
	ds_write_b128 v135, v[121:124]
	ds_write_b128 v135, v[125:128] offset:16
	s_waitcnt lgkmcnt(0)
	s_barrier
	ds_read_b128 v[97:100], v134 offset:4096
	ds_read_b128 v[101:104], v134 offset:6144
	;; [unrolled: 1-line block ×7, first 2 shown]
	ds_read_b128 v[125:128], v134
	s_waitcnt lgkmcnt(7)
	v_mul_f64 v[141:142], v[43:44], v[99:100]
	v_mul_f64 v[43:44], v[43:44], v[97:98]
	s_waitcnt lgkmcnt(6)
	v_mul_f64 v[143:144], v[39:40], v[103:104]
	s_waitcnt lgkmcnt(1)
	v_mul_f64 v[139:140], v[47:48], v[123:124]
	v_mul_f64 v[47:48], v[47:48], v[121:122]
	;; [unrolled: 1-line block ×11, first 2 shown]
	v_fma_f64 v[121:122], v[45:46], v[121:122], v[139:140]
	v_fma_f64 v[45:46], v[45:46], v[123:124], -v[47:48]
	v_fma_f64 v[47:48], v[41:42], v[97:98], v[141:142]
	v_fma_f64 v[41:42], v[41:42], v[99:100], -v[43:44]
	v_fma_f64 v[43:44], v[37:38], v[101:102], v[143:144]
	v_fma_f64 v[37:38], v[37:38], v[103:104], -v[39:40]
	v_fma_f64 v[39:40], v[33:34], v[105:106], v[145:146]
	v_fma_f64 v[33:34], v[33:34], v[107:108], -v[35:36]
	v_fma_f64 v[35:36], v[57:58], v[113:114], v[149:150]
	v_fma_f64 v[57:58], v[57:58], v[115:116], -v[59:60]
	v_fma_f64 v[59:60], v[53:54], v[109:110], v[147:148]
	v_fma_f64 v[53:54], v[53:54], v[111:112], -v[55:56]
	v_fma_f64 v[55:56], v[49:50], v[117:118], v[151:152]
	v_fma_f64 v[49:50], v[49:50], v[119:120], -v[51:52]
	s_waitcnt lgkmcnt(0)
	v_add_f64 v[39:40], v[125:126], -v[39:40]
	v_add_f64 v[33:34], v[127:128], -v[33:34]
	;; [unrolled: 1-line block ×8, first 2 shown]
	v_fma_f64 v[59:60], v[125:126], 2.0, -v[39:40]
	v_fma_f64 v[97:98], v[127:128], 2.0, -v[33:34]
	;; [unrolled: 1-line block ×6, first 2 shown]
	v_add_f64 v[103:104], v[33:34], -v[35:36]
	v_fma_f64 v[35:36], v[43:44], 2.0, -v[55:56]
	v_fma_f64 v[37:38], v[37:38], 2.0, -v[49:50]
	v_add_f64 v[101:102], v[39:40], v[51:52]
	v_add_f64 v[43:44], v[57:58], v[49:50]
	v_add_f64 v[49:50], v[53:54], -v[55:56]
	v_add_f64 v[51:52], v[59:60], -v[47:48]
	;; [unrolled: 1-line block ×3, first 2 shown]
	v_fma_f64 v[107:108], v[33:34], 2.0, -v[103:104]
	v_add_f64 v[35:36], v[99:100], -v[35:36]
	v_add_f64 v[33:34], v[45:46], -v[37:38]
	v_fma_f64 v[105:106], v[39:40], 2.0, -v[101:102]
	v_fma_f64 v[47:48], v[57:58], 2.0, -v[43:44]
	;; [unrolled: 1-line block ×3, first 2 shown]
	v_fma_f64 v[37:38], v[43:44], s[8:9], v[101:102]
	v_fma_f64 v[39:40], v[49:50], s[8:9], v[103:104]
	v_fma_f64 v[57:58], v[59:60], 2.0, -v[51:52]
	v_fma_f64 v[59:60], v[97:98], 2.0, -v[55:56]
	;; [unrolled: 1-line block ×4, first 2 shown]
	v_fma_f64 v[97:98], v[47:48], s[6:7], v[105:106]
	v_fma_f64 v[99:100], v[53:54], s[6:7], v[107:108]
	v_add_f64 v[33:34], v[51:52], v[33:34]
	v_add_f64 v[35:36], v[55:56], -v[35:36]
	v_fma_f64 v[37:38], v[49:50], s[8:9], v[37:38]
	v_fma_f64 v[39:40], v[43:44], s[6:7], v[39:40]
	v_add_f64 v[41:42], v[57:58], -v[41:42]
	v_add_f64 v[43:44], v[59:60], -v[45:46]
	v_fma_f64 v[45:46], v[53:54], s[8:9], v[97:98]
	v_fma_f64 v[47:48], v[47:48], s[6:7], v[99:100]
	v_fma_f64 v[49:50], v[51:52], 2.0, -v[33:34]
	v_fma_f64 v[51:52], v[55:56], 2.0, -v[35:36]
	;; [unrolled: 1-line block ×8, first 2 shown]
	s_barrier
	ds_write_b128 v136, v[33:36] offset:768
	ds_write_b128 v136, v[37:40] offset:896
	ds_write_b128 v136, v[49:52] offset:256
	ds_write_b128 v136, v[53:56] offset:384
	ds_write_b128 v136, v[41:44] offset:512
	ds_write_b128 v136, v[45:48] offset:640
	ds_write_b128 v136, v[57:60]
	ds_write_b128 v136, v[97:100] offset:128
	s_waitcnt lgkmcnt(0)
	s_barrier
	ds_read_b128 v[33:36], v134
	ds_read_b128 v[37:40], v134 offset:2048
	ds_read_b128 v[41:44], v134 offset:4096
	;; [unrolled: 1-line block ×7, first 2 shown]
	s_waitcnt lgkmcnt(5)
	v_mul_f64 v[101:102], v[71:72], v[43:44]
	v_mul_f64 v[103:104], v[71:72], v[41:42]
	s_waitcnt lgkmcnt(3)
	v_mul_f64 v[105:106], v[67:68], v[51:52]
	v_mul_f64 v[107:108], v[67:68], v[49:50]
	;; [unrolled: 3-line block ×3, first 2 shown]
	v_mul_f64 v[113:114], v[71:72], v[47:48]
	v_mul_f64 v[71:72], v[71:72], v[45:46]
	;; [unrolled: 1-line block ×4, first 2 shown]
	s_waitcnt lgkmcnt(0)
	v_mul_f64 v[117:118], v[63:64], v[99:100]
	v_mul_f64 v[63:64], v[63:64], v[97:98]
	v_fma_f64 v[41:42], v[69:70], v[41:42], v[101:102]
	v_fma_f64 v[43:44], v[69:70], v[43:44], -v[103:104]
	v_fma_f64 v[49:50], v[65:66], v[49:50], v[105:106]
	v_fma_f64 v[51:52], v[65:66], v[51:52], -v[107:108]
	;; [unrolled: 2-line block ×6, first 2 shown]
	v_add_f64 v[49:50], v[33:34], -v[49:50]
	v_add_f64 v[51:52], v[35:36], -v[51:52]
	;; [unrolled: 1-line block ×8, first 2 shown]
	v_fma_f64 v[65:66], v[33:34], 2.0, -v[49:50]
	v_fma_f64 v[67:68], v[35:36], 2.0, -v[51:52]
	;; [unrolled: 1-line block ×8, first 2 shown]
	v_add_f64 v[33:34], v[49:50], v[59:60]
	v_add_f64 v[35:36], v[51:52], -v[57:58]
	v_add_f64 v[37:38], v[53:54], v[61:62]
	v_add_f64 v[39:40], v[55:56], -v[63:64]
	v_add_f64 v[41:42], v[65:66], -v[41:42]
	;; [unrolled: 1-line block ×5, first 2 shown]
	v_fma_f64 v[49:50], v[49:50], 2.0, -v[33:34]
	v_fma_f64 v[51:52], v[51:52], 2.0, -v[35:36]
	;; [unrolled: 1-line block ×8, first 2 shown]
	s_barrier
	ds_write_b128 v137, v[33:36] offset:3072
	ds_write_b128 v138, v[37:40] offset:3072
	;; [unrolled: 1-line block ×6, first 2 shown]
	ds_write_b128 v137, v[57:60]
	ds_write_b128 v138, v[61:64]
	s_waitcnt lgkmcnt(0)
	s_barrier
	ds_read_b128 v[33:36], v134
	ds_read_b128 v[37:40], v134 offset:2048
	ds_read_b128 v[41:44], v134 offset:4096
	;; [unrolled: 1-line block ×7, first 2 shown]
	s_waitcnt lgkmcnt(5)
	v_mul_f64 v[65:66], v[95:96], v[43:44]
	v_mul_f64 v[67:68], v[95:96], v[41:42]
	s_waitcnt lgkmcnt(3)
	v_mul_f64 v[69:70], v[87:88], v[51:52]
	v_mul_f64 v[71:72], v[87:88], v[49:50]
	;; [unrolled: 3-line block ×3, first 2 shown]
	v_mul_f64 v[95:96], v[75:76], v[47:48]
	v_mul_f64 v[75:76], v[75:76], v[45:46]
	;; [unrolled: 1-line block ×4, first 2 shown]
	s_waitcnt lgkmcnt(0)
	v_mul_f64 v[99:100], v[83:84], v[63:64]
	v_mul_f64 v[83:84], v[83:84], v[61:62]
	v_fma_f64 v[41:42], v[93:94], v[41:42], v[65:66]
	v_fma_f64 v[43:44], v[93:94], v[43:44], -v[67:68]
	v_fma_f64 v[49:50], v[85:86], v[49:50], v[69:70]
	v_fma_f64 v[51:52], v[85:86], v[51:52], -v[71:72]
	;; [unrolled: 2-line block ×6, first 2 shown]
	v_add_f64 v[49:50], v[33:34], -v[49:50]
	v_add_f64 v[51:52], v[35:36], -v[51:52]
	;; [unrolled: 1-line block ×8, first 2 shown]
	v_fma_f64 v[65:66], v[33:34], 2.0, -v[49:50]
	v_fma_f64 v[67:68], v[35:36], 2.0, -v[51:52]
	;; [unrolled: 1-line block ×8, first 2 shown]
	v_add_f64 v[33:34], v[49:50], v[59:60]
	v_add_f64 v[35:36], v[51:52], -v[57:58]
	v_add_f64 v[37:38], v[53:54], v[63:64]
	v_add_f64 v[39:40], v[55:56], -v[61:62]
	v_add_f64 v[41:42], v[65:66], -v[41:42]
	;; [unrolled: 1-line block ×5, first 2 shown]
	v_fma_f64 v[49:50], v[49:50], 2.0, -v[33:34]
	v_fma_f64 v[51:52], v[51:52], 2.0, -v[35:36]
	;; [unrolled: 1-line block ×8, first 2 shown]
	ds_write_b128 v134, v[33:36] offset:12288
	ds_write_b128 v134, v[37:40] offset:14336
	;; [unrolled: 1-line block ×6, first 2 shown]
	ds_write_b128 v134, v[57:60]
	ds_write_b128 v134, v[61:64] offset:2048
	s_waitcnt lgkmcnt(0)
	s_barrier
	ds_read_b128 v[37:40], v134
	ds_read_b128 v[33:36], v134 offset:2048
	v_mov_b32_e32 v45, v131
	v_mad_u64_u32 v[43:44], s[2:3], s3, v129, v[133:134]
	s_waitcnt lgkmcnt(1)
	v_mul_f64 v[41:42], v[31:32], v[39:40]
	v_mul_f64 v[31:32], v[31:32], v[37:38]
	v_mad_u64_u32 v[44:45], s[2:3], s1, v0, v[45:46]
	v_mov_b32_e32 v133, v43
	v_mov_b32_e32 v0, s5
	;; [unrolled: 1-line block ×3, first 2 shown]
	v_lshlrev_b64 v[43:44], 4, v[132:133]
	v_fma_f64 v[37:38], v[29:30], v[37:38], v[41:42]
	v_fma_f64 v[31:32], v[29:30], v[39:40], -v[31:32]
	s_waitcnt lgkmcnt(0)
	v_mul_f64 v[41:42], v[19:20], v[35:36]
	v_mul_f64 v[19:20], v[19:20], v[33:34]
	v_add_co_u32_e32 v45, vcc, s4, v43
	v_addc_co_u32_e32 v0, vcc, v0, v44, vcc
	v_ldexp_f64 v[29:30], v[37:38], -10
	v_ldexp_f64 v[31:32], v[31:32], -10
	ds_read_b128 v[37:40], v134 offset:4096
	v_fma_f64 v[33:34], v[17:18], v[33:34], v[41:42]
	v_fma_f64 v[35:36], v[17:18], v[35:36], -v[19:20]
	ds_read_b128 v[17:20], v134 offset:6144
	v_lshlrev_b64 v[43:44], 4, v[130:131]
	s_waitcnt lgkmcnt(1)
	v_mul_f64 v[41:42], v[15:16], v[39:40]
	v_mul_f64 v[15:16], v[15:16], v[37:38]
	v_add_co_u32_e32 v43, vcc, v45, v43
	v_addc_co_u32_e32 v44, vcc, v0, v44, vcc
	global_store_dwordx4 v[43:44], v[29:32], off
	s_lshl_b64 s[0:1], s[0:1], 11
	v_ldexp_f64 v[29:30], v[33:34], -10
	v_ldexp_f64 v[31:32], v[35:36], -10
	v_fma_f64 v[33:34], v[13:14], v[37:38], v[41:42]
	v_fma_f64 v[15:16], v[13:14], v[39:40], -v[15:16]
	s_waitcnt lgkmcnt(0)
	v_mul_f64 v[35:36], v[23:24], v[19:20]
	v_mul_f64 v[23:24], v[23:24], v[17:18]
	v_mov_b32_e32 v45, s1
	v_add_co_u32_e32 v37, vcc, s0, v43
	v_addc_co_u32_e32 v38, vcc, v44, v45, vcc
	global_store_dwordx4 v[37:38], v[29:32], off
	ds_read_b128 v[29:32], v134 offset:8192
	v_ldexp_f64 v[13:14], v[33:34], -10
	v_ldexp_f64 v[15:16], v[15:16], -10
	v_fma_f64 v[33:34], v[21:22], v[17:18], v[35:36]
	v_fma_f64 v[21:22], v[21:22], v[19:20], -v[23:24]
	ds_read_b128 v[17:20], v134 offset:10240
	s_waitcnt lgkmcnt(1)
	v_mul_f64 v[23:24], v[11:12], v[31:32]
	v_mul_f64 v[35:36], v[11:12], v[29:30]
	v_add_co_u32_e32 v37, vcc, s0, v37
	v_addc_co_u32_e32 v38, vcc, v38, v45, vcc
	global_store_dwordx4 v[37:38], v[13:16], off
	v_ldexp_f64 v[11:12], v[33:34], -10
	v_ldexp_f64 v[13:14], v[21:22], -10
	v_fma_f64 v[15:16], v[9:10], v[29:30], v[23:24]
	v_fma_f64 v[21:22], v[9:10], v[31:32], -v[35:36]
	s_waitcnt lgkmcnt(0)
	v_mul_f64 v[29:30], v[3:4], v[19:20]
	v_mul_f64 v[3:4], v[3:4], v[17:18]
	v_add_co_u32_e32 v31, vcc, s0, v37
	v_addc_co_u32_e32 v32, vcc, v38, v45, vcc
	global_store_dwordx4 v[31:32], v[11:14], off
	v_ldexp_f64 v[9:10], v[15:16], -10
	ds_read_b128 v[13:16], v134 offset:12288
	v_ldexp_f64 v[11:12], v[21:22], -10
	ds_read_b128 v[21:24], v134 offset:14336
	v_fma_f64 v[17:18], v[1:2], v[17:18], v[29:30]
	v_fma_f64 v[2:3], v[1:2], v[19:20], -v[3:4]
	s_waitcnt lgkmcnt(1)
	v_mul_f64 v[19:20], v[7:8], v[15:16]
	v_mul_f64 v[7:8], v[7:8], v[13:14]
	s_waitcnt lgkmcnt(0)
	v_mul_f64 v[29:30], v[27:28], v[23:24]
	v_mul_f64 v[27:28], v[27:28], v[21:22]
	v_add_co_u32_e32 v31, vcc, s0, v31
	v_addc_co_u32_e32 v32, vcc, v32, v45, vcc
	global_store_dwordx4 v[31:32], v[9:12], off
	v_ldexp_f64 v[0:1], v[17:18], -10
	v_fma_f64 v[9:10], v[5:6], v[13:14], v[19:20]
	v_fma_f64 v[6:7], v[5:6], v[15:16], -v[7:8]
	v_ldexp_f64 v[2:3], v[2:3], -10
	v_fma_f64 v[11:12], v[25:26], v[21:22], v[29:30]
	v_fma_f64 v[13:14], v[25:26], v[23:24], -v[27:28]
	v_add_co_u32_e32 v15, vcc, s0, v31
	v_addc_co_u32_e32 v16, vcc, v32, v45, vcc
	v_ldexp_f64 v[4:5], v[9:10], -10
	v_ldexp_f64 v[6:7], v[6:7], -10
	global_store_dwordx4 v[15:16], v[0:3], off
	v_add_co_u32_e32 v8, vcc, s0, v15
	v_ldexp_f64 v[0:1], v[11:12], -10
	v_ldexp_f64 v[2:3], v[13:14], -10
	v_addc_co_u32_e32 v9, vcc, v16, v45, vcc
	global_store_dwordx4 v[8:9], v[4:7], off
	s_nop 0
	v_add_co_u32_e32 v4, vcc, s0, v8
	v_addc_co_u32_e32 v5, vcc, v9, v45, vcc
	global_store_dwordx4 v[4:5], v[0:3], off
.LBB0_2:
	s_endpgm
	.section	.rodata,"a",@progbits
	.p2align	6, 0x0
	.amdhsa_kernel bluestein_single_back_len1024_dim1_dp_op_CI_CI
		.amdhsa_group_segment_fixed_size 16384
		.amdhsa_private_segment_fixed_size 0
		.amdhsa_kernarg_size 104
		.amdhsa_user_sgpr_count 6
		.amdhsa_user_sgpr_private_segment_buffer 1
		.amdhsa_user_sgpr_dispatch_ptr 0
		.amdhsa_user_sgpr_queue_ptr 0
		.amdhsa_user_sgpr_kernarg_segment_ptr 1
		.amdhsa_user_sgpr_dispatch_id 0
		.amdhsa_user_sgpr_flat_scratch_init 0
		.amdhsa_user_sgpr_private_segment_size 0
		.amdhsa_uses_dynamic_stack 0
		.amdhsa_system_sgpr_private_segment_wavefront_offset 0
		.amdhsa_system_sgpr_workgroup_id_x 1
		.amdhsa_system_sgpr_workgroup_id_y 0
		.amdhsa_system_sgpr_workgroup_id_z 0
		.amdhsa_system_sgpr_workgroup_info 0
		.amdhsa_system_vgpr_workitem_id 0
		.amdhsa_next_free_vgpr 195
		.amdhsa_next_free_sgpr 20
		.amdhsa_reserve_vcc 1
		.amdhsa_reserve_flat_scratch 0
		.amdhsa_float_round_mode_32 0
		.amdhsa_float_round_mode_16_64 0
		.amdhsa_float_denorm_mode_32 3
		.amdhsa_float_denorm_mode_16_64 3
		.amdhsa_dx10_clamp 1
		.amdhsa_ieee_mode 1
		.amdhsa_fp16_overflow 0
		.amdhsa_exception_fp_ieee_invalid_op 0
		.amdhsa_exception_fp_denorm_src 0
		.amdhsa_exception_fp_ieee_div_zero 0
		.amdhsa_exception_fp_ieee_overflow 0
		.amdhsa_exception_fp_ieee_underflow 0
		.amdhsa_exception_fp_ieee_inexact 0
		.amdhsa_exception_int_div_zero 0
	.end_amdhsa_kernel
	.text
.Lfunc_end0:
	.size	bluestein_single_back_len1024_dim1_dp_op_CI_CI, .Lfunc_end0-bluestein_single_back_len1024_dim1_dp_op_CI_CI
                                        ; -- End function
	.section	.AMDGPU.csdata,"",@progbits
; Kernel info:
; codeLenInByte = 7408
; NumSgprs: 24
; NumVgprs: 195
; ScratchSize: 0
; MemoryBound: 0
; FloatMode: 240
; IeeeMode: 1
; LDSByteSize: 16384 bytes/workgroup (compile time only)
; SGPRBlocks: 2
; VGPRBlocks: 48
; NumSGPRsForWavesPerEU: 24
; NumVGPRsForWavesPerEU: 195
; Occupancy: 1
; WaveLimiterHint : 1
; COMPUTE_PGM_RSRC2:SCRATCH_EN: 0
; COMPUTE_PGM_RSRC2:USER_SGPR: 6
; COMPUTE_PGM_RSRC2:TRAP_HANDLER: 0
; COMPUTE_PGM_RSRC2:TGID_X_EN: 1
; COMPUTE_PGM_RSRC2:TGID_Y_EN: 0
; COMPUTE_PGM_RSRC2:TGID_Z_EN: 0
; COMPUTE_PGM_RSRC2:TIDIG_COMP_CNT: 0
	.type	__hip_cuid_f8b3dee74b660cb2,@object ; @__hip_cuid_f8b3dee74b660cb2
	.section	.bss,"aw",@nobits
	.globl	__hip_cuid_f8b3dee74b660cb2
__hip_cuid_f8b3dee74b660cb2:
	.byte	0                               ; 0x0
	.size	__hip_cuid_f8b3dee74b660cb2, 1

	.ident	"AMD clang version 19.0.0git (https://github.com/RadeonOpenCompute/llvm-project roc-6.4.0 25133 c7fe45cf4b819c5991fe208aaa96edf142730f1d)"
	.section	".note.GNU-stack","",@progbits
	.addrsig
	.addrsig_sym __hip_cuid_f8b3dee74b660cb2
	.amdgpu_metadata
---
amdhsa.kernels:
  - .args:
      - .actual_access:  read_only
        .address_space:  global
        .offset:         0
        .size:           8
        .value_kind:     global_buffer
      - .actual_access:  read_only
        .address_space:  global
        .offset:         8
        .size:           8
        .value_kind:     global_buffer
      - .actual_access:  read_only
        .address_space:  global
        .offset:         16
        .size:           8
        .value_kind:     global_buffer
      - .actual_access:  read_only
        .address_space:  global
        .offset:         24
        .size:           8
        .value_kind:     global_buffer
      - .actual_access:  read_only
        .address_space:  global
        .offset:         32
        .size:           8
        .value_kind:     global_buffer
      - .offset:         40
        .size:           8
        .value_kind:     by_value
      - .address_space:  global
        .offset:         48
        .size:           8
        .value_kind:     global_buffer
      - .address_space:  global
        .offset:         56
        .size:           8
        .value_kind:     global_buffer
      - .address_space:  global
        .offset:         64
        .size:           8
        .value_kind:     global_buffer
      - .address_space:  global
        .offset:         72
        .size:           8
        .value_kind:     global_buffer
      - .offset:         80
        .size:           4
        .value_kind:     by_value
      - .address_space:  global
        .offset:         88
        .size:           8
        .value_kind:     global_buffer
      - .address_space:  global
        .offset:         96
        .size:           8
        .value_kind:     global_buffer
    .group_segment_fixed_size: 16384
    .kernarg_segment_align: 8
    .kernarg_segment_size: 104
    .language:       OpenCL C
    .language_version:
      - 2
      - 0
    .max_flat_workgroup_size: 128
    .name:           bluestein_single_back_len1024_dim1_dp_op_CI_CI
    .private_segment_fixed_size: 0
    .sgpr_count:     24
    .sgpr_spill_count: 0
    .symbol:         bluestein_single_back_len1024_dim1_dp_op_CI_CI.kd
    .uniform_work_group_size: 1
    .uses_dynamic_stack: false
    .vgpr_count:     195
    .vgpr_spill_count: 0
    .wavefront_size: 64
amdhsa.target:   amdgcn-amd-amdhsa--gfx906
amdhsa.version:
  - 1
  - 2
...

	.end_amdgpu_metadata
